;; amdgpu-corpus repo=ROCm/rocFFT kind=compiled arch=gfx906 opt=O3
	.text
	.amdgcn_target "amdgcn-amd-amdhsa--gfx906"
	.amdhsa_code_object_version 6
	.protected	fft_rtc_back_len100_factors_10_5_2_wgs_250_tpt_10_dim3_sp_ip_CI_sbcc_twdbase8_2step_dirReg ; -- Begin function fft_rtc_back_len100_factors_10_5_2_wgs_250_tpt_10_dim3_sp_ip_CI_sbcc_twdbase8_2step_dirReg
	.globl	fft_rtc_back_len100_factors_10_5_2_wgs_250_tpt_10_dim3_sp_ip_CI_sbcc_twdbase8_2step_dirReg
	.p2align	8
	.type	fft_rtc_back_len100_factors_10_5_2_wgs_250_tpt_10_dim3_sp_ip_CI_sbcc_twdbase8_2step_dirReg,@function
fft_rtc_back_len100_factors_10_5_2_wgs_250_tpt_10_dim3_sp_ip_CI_sbcc_twdbase8_2step_dirReg: ; @fft_rtc_back_len100_factors_10_5_2_wgs_250_tpt_10_dim3_sp_ip_CI_sbcc_twdbase8_2step_dirReg
; %bb.0:
	s_load_dwordx4 s[0:3], s[4:5], 0x10
	s_mov_b32 s7, 0
	s_mov_b64 s[20:21], 0
	s_waitcnt lgkmcnt(0)
	s_load_dwordx2 s[16:17], s[0:1], 0x8
	s_waitcnt lgkmcnt(0)
	s_add_u32 s8, s16, -1
	s_addc_u32 s9, s17, -1
	s_add_u32 s10, 0, 0xd7093700
	s_addc_u32 s11, 0, 51
	s_mul_hi_u32 s13, s10, 0xffffffe7
	s_add_i32 s11, s11, 0xa3d7070
	s_sub_i32 s13, s13, s10
	s_mul_i32 s18, s11, 0xffffffe7
	s_mul_i32 s12, s10, 0xffffffe7
	s_add_i32 s13, s13, s18
	s_mul_hi_u32 s14, s11, s12
	s_mul_i32 s15, s11, s12
	s_mul_i32 s19, s10, s13
	s_mul_hi_u32 s12, s10, s12
	s_mul_hi_u32 s18, s10, s13
	s_add_u32 s12, s12, s19
	s_addc_u32 s18, 0, s18
	s_add_u32 s12, s12, s15
	s_mul_hi_u32 s19, s11, s13
	s_addc_u32 s12, s18, s14
	s_addc_u32 s14, s19, 0
	s_mul_i32 s13, s11, s13
	s_add_u32 s12, s12, s13
	v_mov_b32_e32 v1, s12
	s_addc_u32 s13, 0, s14
	v_add_co_u32_e32 v1, vcc, s10, v1
	s_cmp_lg_u64 vcc, 0
	s_addc_u32 s10, s11, s13
	v_readfirstlane_b32 s13, v1
	s_mul_i32 s12, s8, s10
	s_mul_hi_u32 s14, s8, s13
	s_mul_hi_u32 s11, s8, s10
	s_add_u32 s12, s14, s12
	s_addc_u32 s11, 0, s11
	s_mul_hi_u32 s15, s9, s13
	s_mul_i32 s13, s9, s13
	s_add_u32 s12, s12, s13
	s_mul_hi_u32 s14, s9, s10
	s_addc_u32 s11, s11, s15
	s_addc_u32 s12, s14, 0
	s_mul_i32 s10, s9, s10
	s_add_u32 s10, s11, s10
	s_addc_u32 s11, 0, s12
	s_add_u32 s12, s10, 1
	s_addc_u32 s13, s11, 0
	s_add_u32 s14, s10, 2
	s_mul_i32 s18, s11, 25
	s_mul_hi_u32 s19, s10, 25
	s_addc_u32 s15, s11, 0
	s_add_i32 s19, s19, s18
	s_mul_i32 s18, s10, 25
	v_mov_b32_e32 v1, s18
	v_sub_co_u32_e32 v1, vcc, s8, v1
	s_cmp_lg_u64 vcc, 0
	s_subb_u32 s8, s9, s19
	v_subrev_co_u32_e32 v2, vcc, 25, v1
	s_cmp_lg_u64 vcc, 0
	s_subb_u32 s9, s8, 0
	v_readfirstlane_b32 s18, v2
	s_cmp_gt_u32 s18, 24
	s_cselect_b32 s18, -1, 0
	s_cmp_eq_u32 s9, 0
	s_cselect_b32 s9, s18, -1
	s_cmp_lg_u32 s9, 0
	s_cselect_b32 s9, s14, s12
	s_cselect_b32 s12, s15, s13
	v_readfirstlane_b32 s13, v1
	s_cmp_gt_u32 s13, 24
	s_cselect_b32 s13, -1, 0
	s_cmp_eq_u32 s8, 0
	s_cselect_b32 s8, s13, -1
	s_cmp_lg_u32 s8, 0
	s_cselect_b32 s9, s9, s10
	s_cselect_b32 s8, s12, s11
	s_add_u32 s18, s9, 1
	s_addc_u32 s19, s8, 0
	v_mov_b32_e32 v1, s18
	v_mov_b32_e32 v2, s19
	v_cmp_lt_u64_e32 vcc, s[6:7], v[1:2]
	s_cbranch_vccnz .LBB0_2
; %bb.1:
	v_cvt_f32_u32_e32 v1, s18
	s_sub_i32 s8, 0, s18
	s_mov_b32 s21, s7
	v_rcp_iflag_f32_e32 v1, v1
	v_mul_f32_e32 v1, 0x4f7ffffe, v1
	v_cvt_u32_f32_e32 v1, v1
	v_readfirstlane_b32 s9, v1
	s_mul_i32 s8, s8, s9
	s_mul_hi_u32 s8, s9, s8
	s_add_i32 s9, s9, s8
	s_mul_hi_u32 s8, s6, s9
	s_mul_i32 s10, s8, s18
	s_sub_i32 s10, s6, s10
	s_add_i32 s9, s8, 1
	s_sub_i32 s11, s10, s18
	s_cmp_ge_u32 s10, s18
	s_cselect_b32 s8, s9, s8
	s_cselect_b32 s10, s11, s10
	s_add_i32 s9, s8, 1
	s_cmp_ge_u32 s10, s18
	s_cselect_b32 s20, s9, s8
.LBB0_2:
	s_load_dwordx2 s[8:9], s[0:1], 0x10
	s_load_dwordx2 s[10:11], s[2:3], 0x8
	s_mov_b64 s[0:1], s[20:21]
	s_waitcnt lgkmcnt(0)
	v_mov_b32_e32 v1, s8
	v_mov_b32_e32 v2, s9
	v_cmp_lt_u64_e32 vcc, s[20:21], v[1:2]
	s_cbranch_vccnz .LBB0_4
; %bb.3:
	v_cvt_f32_u32_e32 v1, s8
	s_sub_i32 s0, 0, s8
	v_rcp_iflag_f32_e32 v1, v1
	v_mul_f32_e32 v1, 0x4f7ffffe, v1
	v_cvt_u32_f32_e32 v1, v1
	v_readfirstlane_b32 s1, v1
	s_mul_i32 s0, s0, s1
	s_mul_hi_u32 s0, s1, s0
	s_add_i32 s1, s1, s0
	s_mul_hi_u32 s0, s20, s1
	s_mul_i32 s0, s0, s8
	s_sub_i32 s0, s20, s0
	s_sub_i32 s1, s0, s8
	s_cmp_ge_u32 s0, s8
	s_cselect_b32 s0, s1, s0
	s_sub_i32 s1, s0, s8
	s_cmp_ge_u32 s0, s8
	s_cselect_b32 s0, s1, s0
.LBB0_4:
	s_mul_i32 s1, s8, s19
	s_mul_hi_u32 s14, s8, s18
	s_add_i32 s1, s14, s1
	s_mul_i32 s9, s9, s18
	s_mul_i32 s14, s8, s18
	s_load_dwordx2 s[12:13], s[4:5], 0x50
	s_add_i32 s15, s1, s9
	s_load_dwordx2 s[8:9], s[2:3], 0x0
	s_load_dwordx2 s[22:23], s[2:3], 0x10
	v_mov_b32_e32 v1, s14
	v_mov_b32_e32 v2, s15
	v_cmp_lt_u64_e32 vcc, s[6:7], v[1:2]
	s_mov_b64 s[24:25], 0
	s_cbranch_vccnz .LBB0_6
; %bb.5:
	v_cvt_f32_u32_e32 v1, s14
	s_sub_i32 s1, 0, s14
	v_rcp_iflag_f32_e32 v1, v1
	v_mul_f32_e32 v1, 0x4f7ffffe, v1
	v_cvt_u32_f32_e32 v1, v1
	v_readfirstlane_b32 s7, v1
	s_mul_i32 s1, s1, s7
	s_mul_hi_u32 s1, s7, s1
	s_add_i32 s7, s7, s1
	s_mul_hi_u32 s1, s6, s7
	s_mul_i32 s15, s1, s14
	s_sub_i32 s15, s6, s15
	s_add_i32 s7, s1, 1
	s_sub_i32 s21, s15, s14
	s_cmp_ge_u32 s15, s14
	s_cselect_b32 s1, s7, s1
	s_cselect_b32 s15, s21, s15
	s_add_i32 s7, s1, 1
	s_cmp_ge_u32 s15, s14
	s_cselect_b32 s24, s7, s1
.LBB0_6:
	s_mul_i32 s1, s20, s19
	s_mul_hi_u32 s7, s20, s18
	s_add_i32 s7, s7, s1
	s_mul_i32 s1, s20, s18
	s_sub_u32 s1, s6, s1
	s_subb_u32 s6, 0, s7
	s_mul_i32 s6, s6, 25
	s_mul_hi_u32 s7, s1, 25
	s_load_dwordx2 s[2:3], s[2:3], 0x18
	s_add_i32 s6, s7, s6
	s_mul_i32 s1, s1, 25
	s_mul_i32 s7, s10, s6
	s_mul_hi_u32 s18, s10, s1
	s_add_i32 s7, s18, s7
	s_mul_i32 s18, s11, s1
	s_waitcnt lgkmcnt(0)
	s_mul_i32 s19, s23, s0
	s_mul_hi_u32 s20, s22, s0
	s_add_i32 s7, s7, s18
	s_mul_i32 s18, s10, s1
	s_add_i32 s20, s20, s19
	s_mul_i32 s0, s22, s0
	s_add_u32 s0, s0, s18
	s_mul_i32 s3, s3, s24
	s_mul_hi_u32 s18, s2, s24
	v_mul_u32_u24_e32 v1, 0xa3e, v0
	s_addc_u32 s7, s20, s7
	s_add_i32 s18, s18, s3
	s_mul_i32 s2, s2, s24
	v_lshrrev_b32_e32 v1, 16, v1
	s_add_u32 s2, s2, s0
	v_mul_lo_u16_e32 v2, 25, v1
	s_addc_u32 s3, s18, s7
	v_sub_u16_e32 v27, v0, v2
	s_load_dwordx2 s[14:15], s[4:5], 0x0
	v_mov_b32_e32 v2, s6
	v_add_co_u32_e32 v3, vcc, s1, v27
	s_add_u32 s0, s1, 25
	v_mov_b32_e32 v5, s16
	v_addc_co_u32_e32 v4, vcc, 0, v2, vcc
	s_addc_u32 s1, s6, 0
	v_mov_b32_e32 v6, s17
	v_cmp_gt_u64_e32 vcc, s[0:1], v[5:6]
	v_cmp_le_u64_e64 s[0:1], s[0:1], v[5:6]
	s_cbranch_vccz .LBB0_12
; %bb.7:
	v_cmp_le_u64_e32 vcc, s[16:17], v[3:4]
                                        ; implicit-def: $vgpr28
                                        ; implicit-def: $vgpr29
                                        ; implicit-def: $vgpr31
                                        ; implicit-def: $vgpr30
                                        ; implicit-def: $vgpr5_vgpr6
	s_and_saveexec_b64 s[6:7], vcc
	s_xor_b64 s[6:7], exec, s[6:7]
; %bb.8:
	v_mov_b32_e32 v2, 0
	v_add_u32_e32 v28, 20, v1
	v_add_u32_e32 v29, 40, v1
	;; [unrolled: 1-line block ×5, first 2 shown]
	v_mov_b32_e32 v6, v2
; %bb.9:
	s_or_saveexec_b64 s[6:7], s[6:7]
                                        ; implicit-def: $vgpr7
                                        ; implicit-def: $vgpr9
                                        ; implicit-def: $vgpr19
                                        ; implicit-def: $vgpr11
                                        ; implicit-def: $vgpr21
                                        ; implicit-def: $vgpr13
                                        ; implicit-def: $vgpr23
                                        ; implicit-def: $vgpr15
                                        ; implicit-def: $vgpr25
                                        ; implicit-def: $vgpr17
	s_xor_b64 exec, exec, s[6:7]
	s_cbranch_execz .LBB0_11
; %bb.10:
	v_mad_u64_u32 v[5:6], s[18:19], s10, v27, 0
	v_mad_u64_u32 v[7:8], s[18:19], s8, v1, 0
	v_mov_b32_e32 v2, v6
	v_mad_u64_u32 v[9:10], s[18:19], s11, v27, v[2:3]
	v_mov_b32_e32 v2, v8
	v_mad_u64_u32 v[10:11], s[18:19], s9, v1, v[2:3]
	s_lshl_b64 s[18:19], s[2:3], 3
	s_add_u32 s20, s12, s18
	s_addc_u32 s18, s13, s19
	v_add_u32_e32 v31, 10, v1
	v_mov_b32_e32 v6, v9
	v_mov_b32_e32 v8, v10
	;; [unrolled: 1-line block ×3, first 2 shown]
	v_mad_u64_u32 v[9:10], s[18:19], s8, v31, 0
	v_lshlrev_b64 v[5:6], 3, v[5:6]
	v_add_u32_e32 v28, 20, v1
	v_add_co_u32_e32 v48, vcc, s20, v5
	v_addc_co_u32_e32 v49, vcc, v2, v6, vcc
	v_mov_b32_e32 v2, v10
	v_mad_u64_u32 v[11:12], s[18:19], s8, v28, 0
	v_lshlrev_b64 v[5:6], 3, v[7:8]
	v_mad_u64_u32 v[7:8], s[18:19], s9, v31, v[2:3]
	v_mov_b32_e32 v2, v12
	v_add_co_u32_e32 v17, vcc, v48, v5
	v_mov_b32_e32 v10, v7
	v_mad_u64_u32 v[7:8], s[18:19], s9, v28, v[2:3]
	v_add_u32_e32 v30, 30, v1
	v_addc_co_u32_e32 v18, vcc, v49, v6, vcc
	v_lshlrev_b64 v[5:6], 3, v[9:10]
	v_mad_u64_u32 v[8:9], s[18:19], s8, v30, 0
	v_add_co_u32_e32 v25, vcc, v48, v5
	v_mov_b32_e32 v2, v9
	v_mov_b32_e32 v12, v7
	v_mad_u64_u32 v[9:10], s[18:19], s9, v30, v[2:3]
	v_add_u32_e32 v29, 40, v1
	v_addc_co_u32_e32 v26, vcc, v49, v6, vcc
	v_lshlrev_b64 v[5:6], 3, v[11:12]
	v_mad_u64_u32 v[10:11], s[18:19], s8, v29, 0
	v_add_co_u32_e32 v32, vcc, v48, v5
	v_mov_b32_e32 v2, v11
	v_add_u32_e32 v5, 50, v1
	v_addc_co_u32_e32 v33, vcc, v49, v6, vcc
	v_lshlrev_b64 v[6:7], 3, v[8:9]
	v_mad_u64_u32 v[8:9], s[18:19], s9, v29, v[2:3]
	v_mad_u64_u32 v[12:13], s[18:19], s8, v5, 0
	v_add_co_u32_e32 v34, vcc, v48, v6
	v_mov_b32_e32 v11, v8
	v_mov_b32_e32 v2, v13
	v_addc_co_u32_e32 v35, vcc, v49, v7, vcc
	v_lshlrev_b64 v[6:7], 3, v[10:11]
	v_mad_u64_u32 v[8:9], s[18:19], s9, v5, v[2:3]
	v_add_u32_e32 v11, 60, v1
	v_mad_u64_u32 v[9:10], s[18:19], s8, v11, 0
	v_add_co_u32_e32 v36, vcc, v48, v6
	v_mov_b32_e32 v2, v10
	v_mov_b32_e32 v13, v8
	v_mad_u64_u32 v[10:11], s[18:19], s9, v11, v[2:3]
	v_add_u32_e32 v8, 0x46, v1
	v_addc_co_u32_e32 v37, vcc, v49, v7, vcc
	v_lshlrev_b64 v[6:7], 3, v[12:13]
	v_mad_u64_u32 v[11:12], s[18:19], s8, v8, 0
	v_add_co_u32_e32 v38, vcc, v48, v6
	v_mov_b32_e32 v2, v12
	v_addc_co_u32_e32 v39, vcc, v49, v7, vcc
	v_lshlrev_b64 v[6:7], 3, v[9:10]
	v_mad_u64_u32 v[8:9], s[18:19], s9, v8, v[2:3]
	v_or_b32_e32 v13, 0x50, v1
	v_mad_u64_u32 v[9:10], s[18:19], s8, v13, 0
	v_mov_b32_e32 v12, v8
	v_add_u32_e32 v8, 0x5a, v1
	v_add_co_u32_e32 v40, vcc, v48, v6
	v_mov_b32_e32 v2, v10
	v_mad_u64_u32 v[42:43], s[18:19], s8, v8, 0
	v_addc_co_u32_e32 v41, vcc, v49, v7, vcc
	v_lshlrev_b64 v[6:7], 3, v[11:12]
	v_mad_u64_u32 v[10:11], s[18:19], s9, v13, v[2:3]
	v_add_co_u32_e32 v44, vcc, v48, v6
	v_mov_b32_e32 v2, v43
	v_addc_co_u32_e32 v45, vcc, v49, v7, vcc
	v_lshlrev_b64 v[6:7], 3, v[9:10]
	v_mad_u64_u32 v[8:9], s[18:19], s9, v8, v[2:3]
	v_add_co_u32_e32 v46, vcc, v48, v6
	v_addc_co_u32_e32 v47, vcc, v49, v7, vcc
	v_mov_b32_e32 v43, v8
	global_load_dwordx2 v[7:8], v[17:18], off
	global_load_dwordx2 v[9:10], v[25:26], off
	;; [unrolled: 1-line block ×8, first 2 shown]
	v_lshlrev_b64 v[17:18], 3, v[42:43]
	v_mov_b32_e32 v2, 0
	v_add_co_u32_e32 v32, vcc, v48, v17
	v_addc_co_u32_e32 v33, vcc, v49, v18, vcc
	global_load_dwordx2 v[25:26], v[46:47], off
	global_load_dwordx2 v[17:18], v[32:33], off
	v_mov_b32_e32 v6, v2
.LBB0_11:
	s_or_b64 exec, exec, s[6:7]
	s_cbranch_execz .LBB0_13
	s_branch .LBB0_14
.LBB0_12:
                                        ; implicit-def: $vgpr7
                                        ; implicit-def: $vgpr9
                                        ; implicit-def: $vgpr19
                                        ; implicit-def: $vgpr11
                                        ; implicit-def: $vgpr21
                                        ; implicit-def: $vgpr13
                                        ; implicit-def: $vgpr23
                                        ; implicit-def: $vgpr15
                                        ; implicit-def: $vgpr28
                                        ; implicit-def: $vgpr29
                                        ; implicit-def: $vgpr31
                                        ; implicit-def: $vgpr30
                                        ; implicit-def: $vgpr25
                                        ; implicit-def: $vgpr17
                                        ; implicit-def: $vgpr5_vgpr6
.LBB0_13:
	v_mad_u64_u32 v[5:6], s[6:7], s10, v27, 0
	s_waitcnt vmcnt(9)
	v_mad_u64_u32 v[7:8], s[6:7], s8, v1, 0
	v_mov_b32_e32 v2, v6
	s_waitcnt vmcnt(8)
	v_mad_u64_u32 v[9:10], s[6:7], s11, v27, v[2:3]
	v_mov_b32_e32 v2, v8
	s_waitcnt vmcnt(6)
	v_mad_u64_u32 v[10:11], s[6:7], s9, v1, v[2:3]
	s_lshl_b64 s[6:7], s[2:3], 3
	s_add_u32 s18, s12, s6
	s_addc_u32 s6, s13, s7
	v_add_u32_e32 v31, 10, v1
	v_mov_b32_e32 v6, v9
	v_mov_b32_e32 v8, v10
	v_mov_b32_e32 v2, s6
	v_mad_u64_u32 v[9:10], s[6:7], s8, v31, 0
	v_lshlrev_b64 v[5:6], 3, v[5:6]
	v_add_u32_e32 v28, 20, v1
	v_add_co_u32_e32 v48, vcc, s18, v5
	v_addc_co_u32_e32 v49, vcc, v2, v6, vcc
	v_mov_b32_e32 v2, v10
	v_mad_u64_u32 v[11:12], s[6:7], s8, v28, 0
	v_lshlrev_b64 v[5:6], 3, v[7:8]
	v_mad_u64_u32 v[7:8], s[6:7], s9, v31, v[2:3]
	v_mov_b32_e32 v2, v12
	s_waitcnt vmcnt(0)
	v_add_co_u32_e32 v17, vcc, v48, v5
	v_mov_b32_e32 v10, v7
	v_mad_u64_u32 v[7:8], s[6:7], s9, v28, v[2:3]
	v_add_u32_e32 v30, 30, v1
	v_addc_co_u32_e32 v18, vcc, v49, v6, vcc
	v_lshlrev_b64 v[5:6], 3, v[9:10]
	v_mad_u64_u32 v[8:9], s[6:7], s8, v30, 0
	v_add_co_u32_e32 v25, vcc, v48, v5
	v_mov_b32_e32 v2, v9
	v_mov_b32_e32 v12, v7
	v_mad_u64_u32 v[9:10], s[6:7], s9, v30, v[2:3]
	v_add_u32_e32 v29, 40, v1
	v_addc_co_u32_e32 v26, vcc, v49, v6, vcc
	v_lshlrev_b64 v[5:6], 3, v[11:12]
	v_mad_u64_u32 v[10:11], s[6:7], s8, v29, 0
	v_add_co_u32_e32 v32, vcc, v48, v5
	v_mov_b32_e32 v2, v11
	v_add_u32_e32 v5, 50, v1
	v_addc_co_u32_e32 v33, vcc, v49, v6, vcc
	v_lshlrev_b64 v[6:7], 3, v[8:9]
	v_mad_u64_u32 v[8:9], s[6:7], s9, v29, v[2:3]
	v_mad_u64_u32 v[12:13], s[6:7], s8, v5, 0
	v_add_co_u32_e32 v34, vcc, v48, v6
	v_mov_b32_e32 v11, v8
	v_mov_b32_e32 v2, v13
	v_addc_co_u32_e32 v35, vcc, v49, v7, vcc
	v_lshlrev_b64 v[6:7], 3, v[10:11]
	v_mad_u64_u32 v[8:9], s[6:7], s9, v5, v[2:3]
	v_add_u32_e32 v11, 60, v1
	v_mad_u64_u32 v[9:10], s[6:7], s8, v11, 0
	v_add_co_u32_e32 v36, vcc, v48, v6
	v_mov_b32_e32 v2, v10
	v_mov_b32_e32 v13, v8
	v_mad_u64_u32 v[10:11], s[6:7], s9, v11, v[2:3]
	v_add_u32_e32 v8, 0x46, v1
	v_addc_co_u32_e32 v37, vcc, v49, v7, vcc
	v_lshlrev_b64 v[6:7], 3, v[12:13]
	v_mad_u64_u32 v[11:12], s[6:7], s8, v8, 0
	v_add_co_u32_e32 v38, vcc, v48, v6
	v_mov_b32_e32 v2, v12
	v_addc_co_u32_e32 v39, vcc, v49, v7, vcc
	v_lshlrev_b64 v[6:7], 3, v[9:10]
	v_mad_u64_u32 v[8:9], s[6:7], s9, v8, v[2:3]
	v_or_b32_e32 v13, 0x50, v1
	v_mad_u64_u32 v[9:10], s[6:7], s8, v13, 0
	v_mov_b32_e32 v12, v8
	v_add_u32_e32 v8, 0x5a, v1
	v_add_co_u32_e32 v40, vcc, v48, v6
	v_mov_b32_e32 v2, v10
	v_mad_u64_u32 v[42:43], s[6:7], s8, v8, 0
	v_addc_co_u32_e32 v41, vcc, v49, v7, vcc
	v_lshlrev_b64 v[6:7], 3, v[11:12]
	v_mad_u64_u32 v[10:11], s[6:7], s9, v13, v[2:3]
	v_add_co_u32_e32 v44, vcc, v48, v6
	v_mov_b32_e32 v2, v43
	v_addc_co_u32_e32 v45, vcc, v49, v7, vcc
	v_lshlrev_b64 v[6:7], 3, v[9:10]
	v_mad_u64_u32 v[8:9], s[6:7], s9, v8, v[2:3]
	v_add_co_u32_e32 v46, vcc, v48, v6
	v_addc_co_u32_e32 v47, vcc, v49, v7, vcc
	v_mov_b32_e32 v43, v8
	global_load_dwordx2 v[7:8], v[17:18], off
	global_load_dwordx2 v[9:10], v[25:26], off
	;; [unrolled: 1-line block ×8, first 2 shown]
	v_lshlrev_b64 v[17:18], 3, v[42:43]
	v_mov_b32_e32 v2, 0
	v_add_co_u32_e32 v32, vcc, v48, v17
	v_addc_co_u32_e32 v33, vcc, v49, v18, vcc
	global_load_dwordx2 v[25:26], v[46:47], off
	global_load_dwordx2 v[17:18], v[32:33], off
	v_mov_b32_e32 v6, v2
.LBB0_14:
	s_waitcnt vmcnt(7)
	v_add_f32_e32 v35, v20, v8
	s_waitcnt vmcnt(5)
	v_add_f32_e32 v35, v22, v35
	v_add_f32_e32 v32, v19, v7
	s_waitcnt vmcnt(3)
	v_add_f32_e32 v35, v24, v35
	v_add_f32_e32 v32, v21, v32
	v_sub_f32_e32 v34, v22, v24
	v_add_f32_e32 v38, v24, v22
	v_sub_f32_e32 v39, v20, v22
	v_sub_f32_e32 v22, v22, v20
	s_waitcnt vmcnt(1)
	v_sub_f32_e32 v40, v20, v26
	v_add_f32_e32 v20, v26, v20
	v_sub_f32_e32 v43, v26, v24
	v_sub_f32_e32 v24, v24, v26
	v_add_f32_e32 v26, v26, v35
	v_add_f32_e32 v35, v12, v10
	;; [unrolled: 1-line block ×5, first 2 shown]
	v_sub_f32_e32 v36, v19, v21
	v_sub_f32_e32 v37, v21, v19
	;; [unrolled: 1-line block ×3, first 2 shown]
	v_add_f32_e32 v41, v25, v19
	v_sub_f32_e32 v19, v19, v25
	v_sub_f32_e32 v42, v25, v23
	;; [unrolled: 1-line block ×3, first 2 shown]
	v_add_f32_e32 v25, v25, v32
	v_add_f32_e32 v32, v11, v9
	;; [unrolled: 1-line block ×3, first 2 shown]
	v_fma_f32 v33, -0.5, v33, v7
	v_add_f32_e32 v32, v13, v32
	v_sub_f32_e32 v45, v14, v16
	v_add_f32_e32 v48, v16, v14
	v_sub_f32_e32 v49, v12, v14
	v_sub_f32_e32 v14, v14, v12
	s_waitcnt vmcnt(0)
	v_sub_f32_e32 v50, v12, v18
	v_add_f32_e32 v12, v18, v12
	v_sub_f32_e32 v53, v18, v16
	v_sub_f32_e32 v16, v16, v18
	v_add_f32_e32 v18, v18, v35
	v_mov_b32_e32 v35, v33
	v_add_f32_e32 v32, v15, v32
	v_fmac_f32_e32 v35, 0xbf737871, v40
	v_fmac_f32_e32 v33, 0x3f737871, v40
	v_add_f32_e32 v44, v15, v13
	v_sub_f32_e32 v46, v11, v13
	v_sub_f32_e32 v47, v13, v11
	;; [unrolled: 1-line block ×3, first 2 shown]
	v_add_f32_e32 v51, v17, v11
	v_sub_f32_e32 v11, v11, v17
	v_sub_f32_e32 v52, v17, v15
	;; [unrolled: 1-line block ×3, first 2 shown]
	v_add_f32_e32 v17, v17, v32
	v_add_f32_e32 v32, v42, v36
	v_fmac_f32_e32 v35, 0xbf167918, v34
	v_fmac_f32_e32 v33, 0x3f167918, v34
	v_fmac_f32_e32 v7, -0.5, v41
	v_fmac_f32_e32 v35, 0x3e9e377a, v32
	v_fmac_f32_e32 v33, 0x3e9e377a, v32
	v_mov_b32_e32 v32, v7
	v_fmac_f32_e32 v32, 0x3f737871, v34
	v_fmac_f32_e32 v7, 0xbf737871, v34
	v_fma_f32 v34, -0.5, v38, v8
	v_fmac_f32_e32 v8, -0.5, v20
	v_add_f32_e32 v23, v23, v37
	v_mov_b32_e32 v37, v8
	v_fmac_f32_e32 v37, 0xbf737871, v21
	v_fmac_f32_e32 v8, 0x3f737871, v21
	v_mov_b32_e32 v36, v34
	v_add_f32_e32 v20, v24, v22
	v_fmac_f32_e32 v37, 0x3f167918, v19
	v_fmac_f32_e32 v8, 0xbf167918, v19
	;; [unrolled: 1-line block ×6, first 2 shown]
	v_fma_f32 v20, -0.5, v44, v9
	v_fmac_f32_e32 v36, 0x3f167918, v21
	v_fmac_f32_e32 v34, 0xbf167918, v21
	v_mov_b32_e32 v21, v20
	v_fmac_f32_e32 v21, 0xbf737871, v50
	v_fmac_f32_e32 v20, 0x3f737871, v50
	;; [unrolled: 1-line block ×4, first 2 shown]
	v_add_f32_e32 v19, v52, v46
	v_fmac_f32_e32 v21, 0xbf167918, v45
	v_fmac_f32_e32 v20, 0x3f167918, v45
	v_fmac_f32_e32 v9, -0.5, v51
	v_fmac_f32_e32 v32, 0x3e9e377a, v23
	v_fmac_f32_e32 v7, 0x3e9e377a, v23
	v_add_f32_e32 v23, v43, v39
	v_fmac_f32_e32 v21, 0x3e9e377a, v19
	v_fmac_f32_e32 v20, 0x3e9e377a, v19
	v_mov_b32_e32 v19, v9
	v_fma_f32 v22, -0.5, v48, v10
	v_fmac_f32_e32 v36, 0x3e9e377a, v23
	v_fmac_f32_e32 v34, 0x3e9e377a, v23
	;; [unrolled: 1-line block ×4, first 2 shown]
	v_mov_b32_e32 v23, v22
	v_add_f32_e32 v15, v15, v47
	v_fmac_f32_e32 v19, 0xbf167918, v50
	v_fmac_f32_e32 v9, 0x3f167918, v50
	;; [unrolled: 1-line block ×6, first 2 shown]
	v_add_f32_e32 v15, v53, v49
	v_fmac_f32_e32 v23, 0x3f167918, v13
	v_fmac_f32_e32 v22, 0xbf167918, v13
	v_fmac_f32_e32 v10, -0.5, v12
	v_fmac_f32_e32 v23, 0x3e9e377a, v15
	v_fmac_f32_e32 v22, 0x3e9e377a, v15
	v_mov_b32_e32 v15, v10
	v_fmac_f32_e32 v10, 0x3f737871, v13
	v_add_f32_e32 v12, v16, v14
	v_fmac_f32_e32 v10, 0xbf167918, v11
	v_fmac_f32_e32 v15, 0xbf737871, v13
	;; [unrolled: 1-line block ×4, first 2 shown]
	v_mul_f32_e32 v13, 0xbf737871, v10
	v_mul_f32_e32 v10, 0xbe9e377a, v10
	v_fmac_f32_e32 v15, 0x3e9e377a, v12
	v_fmac_f32_e32 v10, 0x3f737871, v9
	;; [unrolled: 1-line block ×3, first 2 shown]
	v_add_f32_e32 v12, v8, v10
	v_sub_f32_e32 v8, v8, v10
	v_mul_f32_e32 v9, 0xbf167918, v23
	v_mul_f32_e32 v10, 0xbf737871, v15
	v_fmac_f32_e32 v9, 0x3f4f1bbd, v21
	v_fmac_f32_e32 v10, 0x3e9e377a, v19
	v_mul_f32_e32 v24, 0x3f167918, v21
	v_mul_f32_e32 v39, 0x3f737871, v19
	v_add_f32_e32 v11, v7, v13
	v_sub_f32_e32 v7, v7, v13
	v_add_f32_e32 v13, v17, v25
	v_fmac_f32_e32 v24, 0x3f4f1bbd, v23
	v_mul_f32_e32 v38, 0xbf167918, v22
	v_fmac_f32_e32 v39, 0x3e9e377a, v15
	v_mul_f32_e32 v40, 0xbf4f1bbd, v22
	v_add_f32_e32 v15, v35, v9
	v_sub_f32_e32 v17, v25, v17
	v_add_f32_e32 v19, v32, v10
	v_sub_f32_e32 v21, v35, v9
	v_sub_f32_e32 v25, v32, v10
	v_mul_u32_u24_e32 v10, 0x7d0, v1
	v_lshlrev_b32_e32 v9, 3, v27
	v_fmac_f32_e32 v38, 0xbf4f1bbd, v20
	v_fmac_f32_e32 v40, 0x3f167918, v20
	v_add_f32_e32 v14, v18, v26
	v_add_f32_e32 v16, v36, v24
	v_add3_u32 v10, 0, v10, v9
	v_sub_f32_e32 v18, v26, v18
	v_sub_f32_e32 v22, v36, v24
	v_add_f32_e32 v23, v33, v38
	v_add_f32_e32 v20, v37, v39
	;; [unrolled: 1-line block ×3, first 2 shown]
	v_sub_f32_e32 v32, v33, v38
	v_sub_f32_e32 v26, v37, v39
	;; [unrolled: 1-line block ×3, first 2 shown]
	ds_write2_b64 v10, v[13:14], v[15:16] offset1:25
	ds_write2_b64 v10, v[19:20], v[11:12] offset0:50 offset1:75
	ds_write2_b64 v10, v[23:24], v[17:18] offset0:100 offset1:125
	;; [unrolled: 1-line block ×4, first 2 shown]
	v_mul_lo_u16_e32 v7, 26, v1
	v_lshrrev_b16_e32 v26, 8, v7
	v_mul_lo_u16_e32 v7, 10, v26
	v_sub_u16_e32 v7, v1, v7
	v_and_b32_e32 v40, 0xff, v7
	v_lshlrev_b32_e32 v7, 5, v40
	s_waitcnt lgkmcnt(0)
	s_barrier
	global_load_dwordx4 v[16:19], v7, s[14:15]
	s_movk_i32 s6, 0xcd
	v_mul_lo_u16_sdwa v8, v31, s6 dst_sel:DWORD dst_unused:UNUSED_PAD src0_sel:BYTE_0 src1_sel:DWORD
	v_lshrrev_b16_e32 v41, 11, v8
	v_mul_lo_u16_e32 v8, 10, v41
	v_sub_u16_e32 v8, v31, v8
	v_and_b32_e32 v42, 0xff, v8
	v_lshlrev_b32_e32 v8, 5, v42
	global_load_dwordx4 v[20:23], v8, s[14:15]
	global_load_dwordx4 v[32:35], v7, s[14:15] offset:16
	global_load_dwordx4 v[36:39], v8, s[14:15] offset:16
	v_mul_i32_i24_e32 v7, 0xc8, v28
	v_add3_u32 v14, 0, v7, v9
	ds_read_b64 v[7:8], v14
	s_movk_i32 s6, 0xf8f8
	v_mad_i32_i24 v11, v1, s6, v10
	v_mul_i32_i24_e32 v10, 0xc8, v29
	v_add3_u32 v15, 0, v10, v9
	ds_read_b64 v[12:13], v15
	ds_read_b64 v[24:25], v11 offset:18000
	v_mad_u32_u24 v26, v26, 50, v40
	v_mul_u32_u24_e32 v26, 0xc8, v26
	v_add3_u32 v26, 0, v26, v9
	v_add_u32_e32 v40, 0xf80, v26
	v_cmp_gt_u64_e32 vcc, s[16:17], v[3:4]
	s_or_b64 s[0:1], s[0:1], vcc
	s_waitcnt vmcnt(3) lgkmcnt(2)
	v_mul_f32_e32 v43, v17, v8
	v_fmac_f32_e32 v43, v16, v7
	v_mul_f32_e32 v7, v17, v7
	v_fma_f32 v44, v16, v8, -v7
	v_add_u32_e32 v7, 0x1400, v11
	ds_read2_b32 v[7:8], v7 offset0:220 offset1:221
	s_waitcnt lgkmcnt(2)
	v_mul_f32_e32 v10, v19, v12
	v_mul_f32_e32 v45, v19, v13
	v_fma_f32 v46, v18, v13, -v10
	v_add_u32_e32 v10, 0x2700, v11
	v_fmac_f32_e32 v45, v18, v12
	ds_read2_b64 v[16:19], v10 offset0:2 offset1:252
	s_waitcnt vmcnt(2) lgkmcnt(1)
	v_mul_f32_e32 v47, v8, v21
	v_fmac_f32_e32 v47, v20, v7
	v_mul_f32_e32 v7, v21, v7
	v_fma_f32 v48, v8, v20, -v7
	s_waitcnt lgkmcnt(0)
	v_mul_f32_e32 v49, v17, v23
	v_mul_f32_e32 v7, v16, v23
	v_add_u32_e32 v12, 0x36a0, v11
	v_fmac_f32_e32 v49, v16, v22
	v_fma_f32 v50, v17, v22, -v7
	ds_read2_b64 v[20:23], v12 offset0:2 offset1:252
	s_waitcnt vmcnt(1)
	v_mul_f32_e32 v51, v33, v19
	v_mul_f32_e32 v7, v33, v18
	v_fmac_f32_e32 v51, v32, v18
	v_fma_f32 v32, v32, v19, -v7
	s_waitcnt lgkmcnt(0)
	v_mul_f32_e32 v33, v35, v23
	v_mul_f32_e32 v7, v35, v22
	v_fmac_f32_e32 v33, v34, v22
	v_fma_f32 v22, v34, v23, -v7
	s_waitcnt vmcnt(0)
	v_mul_f32_e32 v7, v20, v37
	v_fma_f32 v34, v21, v36, -v7
	ds_read_b64 v[7:8], v11
	v_mul_f32_e32 v23, v21, v37
	v_mul_f32_e32 v13, v24, v39
	v_fmac_f32_e32 v23, v20, v36
	v_fma_f32 v36, v25, v38, -v13
	v_add_f32_e32 v13, v45, v51
	v_mul_f32_e32 v35, v25, v39
	s_waitcnt lgkmcnt(0)
	v_fma_f32 v16, -0.5, v13, v7
	v_add_f32_e32 v13, v43, v33
	v_fmac_f32_e32 v35, v24, v38
	v_add_f32_e32 v24, v7, v43
	v_fma_f32 v7, -0.5, v13, v7
	v_sub_f32_e32 v25, v46, v32
	v_mov_b32_e32 v18, v7
	v_sub_f32_e32 v13, v45, v43
	v_sub_f32_e32 v17, v51, v33
	v_fmac_f32_e32 v18, 0x3f737871, v25
	v_sub_f32_e32 v37, v44, v22
	v_fmac_f32_e32 v7, 0xbf737871, v25
	v_add_f32_e32 v13, v13, v17
	v_fmac_f32_e32 v18, 0xbf167918, v37
	v_fmac_f32_e32 v7, 0x3f167918, v37
	;; [unrolled: 1-line block ×4, first 2 shown]
	v_add_f32_e32 v13, v46, v32
	v_fma_f32 v17, -0.5, v13, v8
	v_add_f32_e32 v13, v44, v22
	v_add_f32_e32 v38, v8, v44
	v_fmac_f32_e32 v8, -0.5, v13
	v_sub_f32_e32 v13, v46, v44
	v_sub_f32_e32 v19, v32, v22
	v_add_f32_e32 v13, v13, v19
	v_mov_b32_e32 v19, v8
	v_sub_f32_e32 v39, v45, v51
	v_fmac_f32_e32 v19, 0xbf737871, v39
	v_sub_f32_e32 v52, v43, v33
	v_fmac_f32_e32 v8, 0x3f737871, v39
	v_fmac_f32_e32 v19, 0x3f167918, v52
	;; [unrolled: 1-line block ×5, first 2 shown]
	v_mul_i32_i24_e32 v13, 0xc8, v31
	v_add3_u32 v13, 0, v13, v9
	ds_read_b64 v[20:21], v13
	s_waitcnt lgkmcnt(0)
	s_barrier
	ds_write2_b64 v40, v[18:19], v[7:8] offset0:4 offset1:254
	v_sub_f32_e32 v8, v43, v45
	v_sub_f32_e32 v18, v33, v51
	v_add_f32_e32 v7, v24, v45
	v_add_f32_e32 v24, v8, v18
	;; [unrolled: 1-line block ×4, first 2 shown]
	v_sub_f32_e32 v18, v44, v46
	v_sub_f32_e32 v19, v22, v32
	v_add_f32_e32 v8, v8, v22
	v_add_f32_e32 v22, v18, v19
	v_mov_b32_e32 v18, v16
	v_mov_b32_e32 v19, v17
	v_fmac_f32_e32 v18, 0xbf737871, v37
	v_fmac_f32_e32 v19, 0x3f737871, v52
	v_add_f32_e32 v7, v7, v51
	v_fmac_f32_e32 v18, 0xbf167918, v25
	v_fmac_f32_e32 v19, 0x3f167918, v39
	v_add_f32_e32 v7, v7, v33
	v_fmac_f32_e32 v18, 0x3e9e377a, v24
	v_fmac_f32_e32 v19, 0x3e9e377a, v22
	ds_write2_b64 v26, v[7:8], v[18:19] offset1:250
	v_sub_f32_e32 v7, v47, v49
	v_sub_f32_e32 v8, v35, v23
	v_add_f32_e32 v8, v7, v8
	v_add_f32_e32 v7, v49, v23
	v_fmac_f32_e32 v16, 0x3f737871, v37
	v_fma_f32 v7, -0.5, v7, v20
	v_fmac_f32_e32 v16, 0x3f167918, v25
	v_fmac_f32_e32 v17, 0xbf737871, v52
	v_sub_f32_e32 v19, v48, v36
	v_mov_b32_e32 v18, v7
	v_fmac_f32_e32 v16, 0x3e9e377a, v24
	v_fmac_f32_e32 v17, 0xbf167918, v39
	;; [unrolled: 1-line block ×3, first 2 shown]
	v_sub_f32_e32 v24, v50, v34
	v_fmac_f32_e32 v7, 0x3f737871, v19
	v_fmac_f32_e32 v17, 0x3e9e377a, v22
	;; [unrolled: 1-line block ×4, first 2 shown]
	v_add_f32_e32 v22, v47, v35
	v_fmac_f32_e32 v18, 0x3e9e377a, v8
	v_fmac_f32_e32 v7, 0x3e9e377a, v8
	v_add_f32_e32 v8, v20, v47
	v_fma_f32 v20, -0.5, v22, v20
	v_sub_f32_e32 v22, v49, v47
	v_sub_f32_e32 v25, v23, v35
	v_add_f32_e32 v25, v22, v25
	v_mov_b32_e32 v22, v20
	v_fmac_f32_e32 v22, 0x3f737871, v24
	v_fmac_f32_e32 v20, 0xbf737871, v24
	;; [unrolled: 1-line block ×4, first 2 shown]
	v_add_f32_e32 v8, v8, v49
	v_add_f32_e32 v19, v21, v48
	;; [unrolled: 1-line block ×7, first 2 shown]
	v_fmac_f32_e32 v22, 0x3e9e377a, v25
	v_fmac_f32_e32 v20, 0x3e9e377a, v25
	v_add_f32_e32 v25, v19, v36
	v_fma_f32 v8, -0.5, v8, v21
	v_sub_f32_e32 v33, v49, v23
	v_sub_f32_e32 v19, v48, v50
	;; [unrolled: 1-line block ×4, first 2 shown]
	v_add_f32_e32 v23, v19, v23
	v_mov_b32_e32 v19, v8
	v_fmac_f32_e32 v19, 0x3f737871, v32
	v_fmac_f32_e32 v8, 0xbf737871, v32
	;; [unrolled: 1-line block ×6, first 2 shown]
	v_add_f32_e32 v23, v48, v36
	v_fmac_f32_e32 v21, -0.5, v23
	v_sub_f32_e32 v23, v50, v48
	v_sub_f32_e32 v34, v34, v36
	v_add_f32_e32 v34, v23, v34
	v_mov_b32_e32 v23, v21
	ds_write_b64 v26, v[16:17] offset:8000
	v_mad_u32_u24 v16, v41, 50, v42
	v_fmac_f32_e32 v23, 0xbf737871, v33
	v_fmac_f32_e32 v21, 0x3f737871, v33
	v_mul_u32_u24_e32 v16, 0xc8, v16
	v_fmac_f32_e32 v23, 0x3f167918, v32
	v_fmac_f32_e32 v21, 0xbf167918, v32
	v_add3_u32 v16, 0, v16, v9
	v_fmac_f32_e32 v23, 0x3e9e377a, v34
	v_fmac_f32_e32 v21, 0x3e9e377a, v34
	v_add_u32_e32 v17, 0xf80, v16
	ds_write2_b64 v16, v[24:25], v[18:19] offset1:250
	ds_write2_b64 v17, v[22:23], v[20:21] offset0:4 offset1:254
	ds_write_b64 v16, v[7:8] offset:8000
	s_waitcnt lgkmcnt(0)
	s_barrier
	s_and_saveexec_b64 s[6:7], s[0:1]
	s_cbranch_execz .LBB0_16
; %bb.15:
	s_load_dwordx2 s[0:1], s[4:5], 0x8
	s_movk_i32 s4, 0xfa
	v_add_u32_e32 v4, -10, v1
	v_cmp_gt_u32_e32 vcc, s4, v0
	v_cndmask_b32_e32 v7, v4, v29, vcc
	v_add_u32_e32 v18, 50, v7
	v_mov_b32_e32 v8, 0
	v_mul_lo_u32 v18, v3, v18
	v_lshlrev_b64 v[16:17], 3, v[7:8]
	v_mov_b32_e32 v4, s15
	v_add_co_u32_e32 v16, vcc, s14, v16
	v_mov_b32_e32 v26, 3
	v_addc_co_u32_e32 v17, vcc, v4, v17, vcc
	v_lshlrev_b32_sdwa v22, v26, v18 dst_sel:DWORD dst_unused:UNUSED_PAD src0_sel:DWORD src1_sel:BYTE_0
	global_load_dwordx2 v[16:17], v[16:17], off offset:320
	v_lshlrev_b32_sdwa v23, v26, v18 dst_sel:DWORD dst_unused:UNUSED_PAD src0_sel:DWORD src1_sel:BYTE_1
	s_waitcnt lgkmcnt(0)
	global_load_dwordx2 v[18:19], v22, s[0:1]
	global_load_dwordx2 v[20:21], v23, s[0:1] offset:2048
	v_mul_lo_u32 v22, v3, v7
	s_movk_i32 s4, 0x1f4
	v_cmp_gt_u32_e32 vcc, s4, v0
	s_movk_i32 s4, 0x2ee
	v_lshlrev_b32_sdwa v32, v26, v22 dst_sel:DWORD dst_unused:UNUSED_PAD src0_sel:DWORD src1_sel:BYTE_0
	v_lshlrev_b32_sdwa v33, v26, v22 dst_sel:DWORD dst_unused:UNUSED_PAD src0_sel:DWORD src1_sel:BYTE_1
	global_load_dwordx2 v[22:23], v32, s[0:1]
	global_load_dwordx2 v[24:25], v33, s[0:1] offset:2048
	v_subrev_u32_e32 v32, 20, v1
	v_cndmask_b32_e32 v32, v32, v30, vcc
	v_add_u32_e32 v35, 50, v32
	v_mov_b32_e32 v33, v8
	v_mul_lo_u32 v35, v3, v35
	v_lshlrev_b64 v[33:34], 3, v[32:33]
	v_subrev_u32_e32 v45, 30, v1
	v_add_co_u32_e32 v33, vcc, s14, v33
	v_addc_co_u32_e32 v34, vcc, v4, v34, vcc
	v_lshlrev_b32_sdwa v39, v26, v35 dst_sel:DWORD dst_unused:UNUSED_PAD src0_sel:DWORD src1_sel:BYTE_0
	global_load_dwordx2 v[33:34], v[33:34], off offset:320
	v_lshlrev_b32_sdwa v40, v26, v35 dst_sel:DWORD dst_unused:UNUSED_PAD src0_sel:DWORD src1_sel:BYTE_1
	global_load_dwordx2 v[35:36], v39, s[0:1]
	global_load_dwordx2 v[37:38], v40, s[0:1] offset:2048
	v_mul_lo_u32 v39, v3, v32
	v_cmp_gt_u32_e32 vcc, s4, v0
	v_cndmask_b32_e32 v45, v45, v28, vcc
	v_mov_b32_e32 v46, v8
	v_lshlrev_b32_sdwa v43, v26, v39 dst_sel:DWORD dst_unused:UNUSED_PAD src0_sel:DWORD src1_sel:BYTE_0
	v_lshlrev_b32_sdwa v44, v26, v39 dst_sel:DWORD dst_unused:UNUSED_PAD src0_sel:DWORD src1_sel:BYTE_1
	global_load_dwordx2 v[39:40], v43, s[0:1]
	global_load_dwordx2 v[41:42], v44, s[0:1] offset:2048
	v_add_u32_e32 v48, 50, v45
	v_lshlrev_b64 v[46:47], 3, v[45:46]
	v_mul_lo_u32 v52, v3, v48
	v_add_co_u32_e32 v46, vcc, s14, v46
	v_addc_co_u32_e32 v47, vcc, v4, v47, vcc
	ds_read_b64 v[43:44], v11 offset:18000
	global_load_dwordx2 v[46:47], v[46:47], off offset:320
	ds_read_b64 v[48:49], v15
	ds_read_b64 v[50:51], v14
	v_lshlrev_b32_sdwa v14, v26, v52 dst_sel:DWORD dst_unused:UNUSED_PAD src0_sel:DWORD src1_sel:BYTE_0
	v_lshlrev_b32_sdwa v15, v26, v52 dst_sel:DWORD dst_unused:UNUSED_PAD src0_sel:DWORD src1_sel:BYTE_1
	global_load_dwordx2 v[52:53], v14, s[0:1]
	global_load_dwordx2 v[54:55], v15, s[0:1] offset:2048
	ds_read_b64 v[56:57], v11
	s_movk_i32 s4, 0x3e8
	v_cmp_gt_u32_e32 vcc, s4, v0
	s_waitcnt vmcnt(12) lgkmcnt(3)
	v_mul_f32_e32 v11, v17, v43
	v_mul_f32_e32 v58, v17, v44
	s_waitcnt vmcnt(10)
	v_mul_f32_e32 v14, v19, v21
	v_fma_f32 v11, v16, v44, -v11
	v_fmac_f32_e32 v58, v16, v43
	v_mul_f32_e32 v21, v18, v21
	v_fma_f32 v44, v18, v20, -v14
	ds_read2_b64 v[14:17], v12 offset0:2 offset1:252
	v_mul_i32_i24_e32 v43, 0xc8, v30
	v_fmac_f32_e32 v21, v19, v20
	s_waitcnt lgkmcnt(3)
	v_sub_f32_e32 v11, v49, v11
	v_sub_f32_e32 v12, v48, v58
	s_waitcnt vmcnt(8)
	v_mul_f32_e32 v18, v23, v25
	v_mul_f32_e32 v25, v22, v25
	v_fma_f32 v22, v22, v24, -v18
	v_mul_f32_e32 v19, v12, v21
	v_mul_f32_e32 v18, v11, v21
	v_add3_u32 v9, 0, v43, v9
	v_fma_f32 v20, v49, 2.0, -v11
	v_fma_f32 v48, v48, 2.0, -v12
	v_fma_f32 v19, v11, v44, -v19
	v_fmac_f32_e32 v18, v12, v44
	ds_read_b64 v[11:12], v9
	v_fmac_f32_e32 v25, v23, v24
	s_waitcnt vmcnt(7) lgkmcnt(1)
	v_mul_f32_e32 v9, v34, v16
	v_mul_f32_e32 v21, v48, v25
	v_fma_f32 v9, v33, v17, -v9
	v_mul_f32_e32 v17, v34, v17
	v_fma_f32 v21, v20, v22, -v21
	v_mul_f32_e32 v20, v20, v25
	v_fmac_f32_e32 v17, v33, v16
	s_waitcnt vmcnt(5)
	v_mul_f32_e32 v16, v35, v38
	v_fmac_f32_e32 v20, v48, v22
	v_mul_f32_e32 v22, v36, v38
	s_waitcnt lgkmcnt(0)
	v_sub_f32_e32 v23, v11, v17
	v_fmac_f32_e32 v16, v36, v37
	v_sub_f32_e32 v9, v12, v9
	v_fma_f32 v22, v35, v37, -v22
	v_mul_f32_e32 v17, v23, v16
	v_fma_f32 v17, v9, v22, -v17
	v_mul_f32_e32 v16, v9, v16
	v_fma_f32 v9, v12, 2.0, -v9
	s_waitcnt vmcnt(3)
	v_mul_f32_e32 v12, v40, v42
	v_fma_f32 v44, v39, v41, -v12
	v_mul_lo_u32 v12, v3, v45
	v_fma_f32 v58, v11, 2.0, -v23
	v_mul_f32_e32 v11, v39, v42
	v_fmac_f32_e32 v11, v40, v41
	v_fmac_f32_e32 v16, v23, v22
	v_mul_f32_e32 v22, v58, v11
	v_fma_f32 v23, v9, v44, -v22
	v_mul_f32_e32 v22, v9, v11
	v_lshlrev_b32_sdwa v9, v26, v12 dst_sel:DWORD dst_unused:UNUSED_PAD src0_sel:DWORD src1_sel:BYTE_0
	v_lshlrev_b32_sdwa v33, v26, v12 dst_sel:DWORD dst_unused:UNUSED_PAD src0_sel:DWORD src1_sel:BYTE_1
	global_load_dwordx2 v[11:12], v9, s[0:1]
	global_load_dwordx2 v[24:25], v33, s[0:1] offset:2048
	v_subrev_u32_e32 v9, 40, v1
	v_cndmask_b32_e32 v33, v9, v31, vcc
	v_mov_b32_e32 v34, v8
	v_add_u32_e32 v0, 50, v33
	v_lshlrev_b64 v[8:9], 3, v[33:34]
	v_mul_lo_u32 v0, v3, v0
	v_add_co_u32_e32 v8, vcc, s14, v8
	v_addc_co_u32_e32 v9, vcc, v4, v9, vcc
	global_load_dwordx2 v[34:35], v[8:9], off offset:320
	v_lshlrev_b32_sdwa v8, v26, v0 dst_sel:DWORD dst_unused:UNUSED_PAD src0_sel:DWORD src1_sel:BYTE_0
	v_lshlrev_b32_sdwa v0, v26, v0 dst_sel:DWORD dst_unused:UNUSED_PAD src0_sel:DWORD src1_sel:BYTE_1
	global_load_dwordx2 v[36:37], v8, s[0:1]
	global_load_dwordx2 v[38:39], v0, s[0:1] offset:2048
	v_mul_lo_u32 v8, v3, v33
	s_waitcnt vmcnt(5)
	v_mul_f32_e32 v9, v53, v55
	v_mul_f32_e32 v0, v47, v14
	;; [unrolled: 1-line block ×3, first 2 shown]
	v_fma_f32 v60, v52, v54, -v9
	v_lshlrev_b32_sdwa v9, v26, v8 dst_sel:DWORD dst_unused:UNUSED_PAD src0_sel:DWORD src1_sel:BYTE_0
	v_lshlrev_b32_sdwa v8, v26, v8 dst_sel:DWORD dst_unused:UNUSED_PAD src0_sel:DWORD src1_sel:BYTE_1
	v_fma_f32 v0, v46, v15, -v0
	v_fmac_f32_e32 v59, v46, v14
	global_load_dwordx2 v[14:15], v9, s[0:1]
	global_load_dwordx2 v[40:41], v8, s[0:1] offset:2048
	v_lshlrev_b64 v[8:9], 3, v[1:2]
	v_mul_lo_u32 v46, v3, v5
	v_add_co_u32_e32 v8, vcc, s14, v8
	v_addc_co_u32_e32 v9, vcc, v4, v9, vcc
	global_load_dwordx2 v[42:43], v[8:9], off offset:320
	v_lshlrev_b32_sdwa v4, v26, v46 dst_sel:DWORD dst_unused:UNUSED_PAD src0_sel:DWORD src1_sel:BYTE_0
	v_mul_lo_u32 v9, v3, v1
	v_lshlrev_b32_sdwa v8, v26, v46 dst_sel:DWORD dst_unused:UNUSED_PAD src0_sel:DWORD src1_sel:BYTE_1
	global_load_dwordx2 v[46:47], v4, s[0:1]
	global_load_dwordx2 v[48:49], v8, s[0:1] offset:2048
	v_mul_f32_e32 v52, v52, v55
	v_fmac_f32_e32 v52, v53, v54
	v_sub_f32_e32 v8, v50, v59
	v_fmac_f32_e32 v22, v58, v44
	v_sub_f32_e32 v0, v51, v0
	v_mul_f32_e32 v3, v8, v52
	v_lshlrev_b32_sdwa v44, v26, v9 dst_sel:DWORD dst_unused:UNUSED_PAD src0_sel:DWORD src1_sel:BYTE_0
	v_fma_f32 v4, v0, v60, -v3
	v_mul_f32_e32 v3, v0, v52
	v_lshlrev_b32_sdwa v9, v26, v9 dst_sel:DWORD dst_unused:UNUSED_PAD src0_sel:DWORD src1_sel:BYTE_1
	global_load_dwordx2 v[52:53], v44, s[0:1]
	global_load_dwordx2 v[54:55], v9, s[0:1] offset:2048
	v_fma_f32 v44, v50, 2.0, -v8
	v_fmac_f32_e32 v3, v8, v60
	v_fma_f32 v0, v51, 2.0, -v0
	v_mul_lo_u32 v2, s8, v2
	s_waitcnt vmcnt(10)
	v_mul_f32_e32 v50, v11, v25
	v_mul_f32_e32 v9, v12, v25
	v_fmac_f32_e32 v50, v12, v24
	v_fma_f32 v26, v11, v24, -v9
	v_mul_f32_e32 v8, v44, v50
	v_fma_f32 v25, v0, v26, -v8
	ds_read2_b64 v[8:11], v10 offset0:2 offset1:252
	ds_read_b64 v[12:13], v13
	v_mul_f32_e32 v24, v0, v50
	v_fmac_f32_e32 v24, v44, v26
	s_waitcnt vmcnt(9) lgkmcnt(1)
	v_mul_f32_e32 v0, v35, v10
	v_fma_f32 v0, v34, v11, -v0
	v_mul_f32_e32 v11, v35, v11
	v_fmac_f32_e32 v11, v34, v10
	s_waitcnt vmcnt(7)
	v_mul_f32_e32 v10, v36, v39
	s_waitcnt lgkmcnt(0)
	v_sub_f32_e32 v0, v13, v0
	v_mul_f32_e32 v26, v37, v39
	v_sub_f32_e32 v34, v12, v11
	v_fmac_f32_e32 v10, v37, v38
	v_fma_f32 v26, v36, v38, -v26
	v_mul_f32_e32 v11, v34, v10
	v_mul_f32_e32 v10, v0, v10
	v_fmac_f32_e32 v10, v34, v26
	v_fma_f32 v34, v12, 2.0, -v34
	s_waitcnt vmcnt(5)
	v_mul_f32_e32 v12, v14, v41
	v_fma_f32 v11, v0, v26, -v11
	v_fma_f32 v0, v13, 2.0, -v0
	v_mul_f32_e32 v13, v15, v41
	v_fmac_f32_e32 v12, v15, v40
	v_fma_f32 v26, v14, v40, -v13
	v_mul_f32_e32 v13, v34, v12
	v_fma_f32 v13, v0, v26, -v13
	v_mul_f32_e32 v12, v0, v12
	s_waitcnt vmcnt(4)
	v_mul_f32_e32 v0, v43, v8
	v_fma_f32 v0, v42, v9, -v0
	v_mul_f32_e32 v9, v43, v9
	v_fmac_f32_e32 v9, v42, v8
	s_waitcnt vmcnt(2)
	v_mul_f32_e32 v8, v46, v49
	v_sub_f32_e32 v0, v57, v0
	v_mul_f32_e32 v14, v47, v49
	v_sub_f32_e32 v15, v56, v9
	v_fmac_f32_e32 v8, v47, v48
	v_fma_f32 v14, v46, v48, -v14
	v_mul_f32_e32 v9, v15, v8
	v_mul_f32_e32 v8, v0, v8
	v_fma_f32 v9, v0, v14, -v9
	v_fmac_f32_e32 v8, v15, v14
	v_fma_f32 v37, v56, 2.0, -v15
	v_mad_u64_u32 v[14:15], s[0:1], s10, v27, 0
	s_waitcnt vmcnt(0)
	v_mul_f32_e32 v38, v52, v55
	v_fmac_f32_e32 v12, v34, v26
	v_fma_f32 v34, v57, 2.0, -v0
	v_mul_f32_e32 v0, v53, v55
	v_fmac_f32_e32 v38, v53, v54
	v_fma_f32 v36, v52, v54, -v0
	v_mul_f32_e32 v0, v37, v38
	v_fma_f32 v35, v34, v36, -v0
	v_mov_b32_e32 v0, v15
	v_mad_u64_u32 v[26:27], s[0:1], s11, v27, v[0:1]
	v_mul_lo_u32 v27, s9, v1
	v_mad_u64_u32 v[0:1], s[0:1], s8, v1, 0
	v_mov_b32_e32 v15, v26
	s_lshl_b64 s[0:1], s[2:3], 3
	s_add_u32 s0, s12, s0
	v_lshlrev_b64 v[14:15], 3, v[14:15]
	v_mul_f32_e32 v34, v34, v38
	s_addc_u32 s1, s13, s1
	v_fmac_f32_e32 v34, v37, v36
	v_add3_u32 v1, v1, v2, v27
	v_mov_b32_e32 v2, s1
	v_add_co_u32_e32 v36, vcc, s0, v14
	v_addc_co_u32_e32 v37, vcc, v2, v15, vcc
	v_mul_lo_u32 v2, s9, v5
	v_mul_lo_u32 v14, s8, v6
	v_mad_u64_u32 v[5:6], s[0:1], s8, v5, 0
	v_lshlrev_b64 v[0:1], 3, v[0:1]
	v_add_co_u32_e32 v0, vcc, v36, v0
	v_add3_u32 v6, v6, v14, v2
	v_sub_u32_e32 v2, v31, v33
	v_addc_co_u32_e32 v1, vcc, v37, v1, vcc
	v_add_u32_e32 v26, v2, v31
	global_store_dwordx2 v[0:1], v[34:35], off
	v_lshlrev_b64 v[0:1], 3, v[5:6]
	v_mad_u64_u32 v[5:6], s[0:1], s8, v26, 0
	v_add_co_u32_e32 v0, vcc, v36, v0
	v_mov_b32_e32 v2, v6
	v_mad_u64_u32 v[14:15], s[0:1], s9, v26, v[2:3]
	v_add_u32_e32 v15, 50, v26
	v_mad_u64_u32 v[26:27], s[0:1], s8, v15, 0
	v_addc_co_u32_e32 v1, vcc, v37, v1, vcc
	v_mov_b32_e32 v6, v14
	global_store_dwordx2 v[0:1], v[8:9], off
	v_lshlrev_b64 v[0:1], 3, v[5:6]
	v_mov_b32_e32 v2, v27
	v_mad_u64_u32 v[5:6], s[0:1], s9, v15, v[2:3]
	v_add_co_u32_e32 v0, vcc, v36, v0
	v_addc_co_u32_e32 v1, vcc, v37, v1, vcc
	v_sub_u32_e32 v2, v28, v45
	global_store_dwordx2 v[0:1], v[12:13], off
	v_add_u32_e32 v12, v2, v28
	v_mov_b32_e32 v27, v5
	v_mad_u64_u32 v[5:6], s[0:1], s8, v12, 0
	v_lshlrev_b64 v[0:1], 3, v[26:27]
	v_mov_b32_e32 v2, v6
	v_mad_u64_u32 v[8:9], s[0:1], s9, v12, v[2:3]
	v_add_u32_e32 v9, 50, v12
	v_mad_u64_u32 v[12:13], s[0:1], s8, v9, 0
	v_add_co_u32_e32 v0, vcc, v36, v0
	v_addc_co_u32_e32 v1, vcc, v37, v1, vcc
	v_mov_b32_e32 v6, v8
	v_mov_b32_e32 v2, v13
	global_store_dwordx2 v[0:1], v[10:11], off
	v_lshlrev_b64 v[0:1], 3, v[5:6]
	v_mad_u64_u32 v[5:6], s[0:1], s9, v9, v[2:3]
	v_sub_u32_e32 v2, v30, v32
	v_add_u32_e32 v10, v2, v30
	v_mov_b32_e32 v13, v5
	v_mad_u64_u32 v[5:6], s[0:1], s8, v10, 0
	v_add_co_u32_e32 v0, vcc, v36, v0
	v_mov_b32_e32 v2, v6
	v_mad_u64_u32 v[8:9], s[0:1], s9, v10, v[2:3]
	v_add_u32_e32 v11, 50, v10
	v_addc_co_u32_e32 v1, vcc, v37, v1, vcc
	v_mad_u64_u32 v[9:10], s[0:1], s8, v11, 0
	global_store_dwordx2 v[0:1], v[24:25], off
	v_lshlrev_b64 v[0:1], 3, v[12:13]
	v_mov_b32_e32 v2, v10
	v_add_co_u32_e32 v0, vcc, v36, v0
	v_addc_co_u32_e32 v1, vcc, v37, v1, vcc
	global_store_dwordx2 v[0:1], v[3:4], off
	v_mad_u64_u32 v[2:3], s[0:1], s9, v11, v[2:3]
	v_mov_b32_e32 v6, v8
	v_lshlrev_b64 v[0:1], 3, v[5:6]
	v_mov_b32_e32 v10, v2
	v_sub_u32_e32 v2, v29, v7
	v_add_u32_e32 v5, v2, v29
	v_mad_u64_u32 v[2:3], s[0:1], s8, v5, 0
	v_add_co_u32_e32 v0, vcc, v36, v0
	v_addc_co_u32_e32 v1, vcc, v37, v1, vcc
	v_mad_u64_u32 v[3:4], s[0:1], s9, v5, v[3:4]
	v_add_u32_e32 v6, 50, v5
	global_store_dwordx2 v[0:1], v[22:23], off
	v_lshlrev_b64 v[0:1], 3, v[9:10]
	v_mad_u64_u32 v[4:5], s[0:1], s8, v6, 0
	v_add_co_u32_e32 v0, vcc, v36, v0
	v_addc_co_u32_e32 v1, vcc, v37, v1, vcc
	global_store_dwordx2 v[0:1], v[16:17], off
	v_lshlrev_b64 v[0:1], 3, v[2:3]
	v_mov_b32_e32 v2, v5
	v_mad_u64_u32 v[2:3], s[0:1], s9, v6, v[2:3]
	v_add_co_u32_e32 v0, vcc, v36, v0
	v_addc_co_u32_e32 v1, vcc, v37, v1, vcc
	v_mov_b32_e32 v5, v2
	global_store_dwordx2 v[0:1], v[20:21], off
	v_lshlrev_b64 v[0:1], 3, v[4:5]
	v_add_co_u32_e32 v0, vcc, v36, v0
	v_addc_co_u32_e32 v1, vcc, v37, v1, vcc
	global_store_dwordx2 v[0:1], v[18:19], off
.LBB0_16:
	s_endpgm
	.section	.rodata,"a",@progbits
	.p2align	6, 0x0
	.amdhsa_kernel fft_rtc_back_len100_factors_10_5_2_wgs_250_tpt_10_dim3_sp_ip_CI_sbcc_twdbase8_2step_dirReg
		.amdhsa_group_segment_fixed_size 0
		.amdhsa_private_segment_fixed_size 0
		.amdhsa_kernarg_size 88
		.amdhsa_user_sgpr_count 6
		.amdhsa_user_sgpr_private_segment_buffer 1
		.amdhsa_user_sgpr_dispatch_ptr 0
		.amdhsa_user_sgpr_queue_ptr 0
		.amdhsa_user_sgpr_kernarg_segment_ptr 1
		.amdhsa_user_sgpr_dispatch_id 0
		.amdhsa_user_sgpr_flat_scratch_init 0
		.amdhsa_user_sgpr_private_segment_size 0
		.amdhsa_uses_dynamic_stack 0
		.amdhsa_system_sgpr_private_segment_wavefront_offset 0
		.amdhsa_system_sgpr_workgroup_id_x 1
		.amdhsa_system_sgpr_workgroup_id_y 0
		.amdhsa_system_sgpr_workgroup_id_z 0
		.amdhsa_system_sgpr_workgroup_info 0
		.amdhsa_system_vgpr_workitem_id 0
		.amdhsa_next_free_vgpr 61
		.amdhsa_next_free_sgpr 26
		.amdhsa_reserve_vcc 1
		.amdhsa_reserve_flat_scratch 0
		.amdhsa_float_round_mode_32 0
		.amdhsa_float_round_mode_16_64 0
		.amdhsa_float_denorm_mode_32 3
		.amdhsa_float_denorm_mode_16_64 3
		.amdhsa_dx10_clamp 1
		.amdhsa_ieee_mode 1
		.amdhsa_fp16_overflow 0
		.amdhsa_exception_fp_ieee_invalid_op 0
		.amdhsa_exception_fp_denorm_src 0
		.amdhsa_exception_fp_ieee_div_zero 0
		.amdhsa_exception_fp_ieee_overflow 0
		.amdhsa_exception_fp_ieee_underflow 0
		.amdhsa_exception_fp_ieee_inexact 0
		.amdhsa_exception_int_div_zero 0
	.end_amdhsa_kernel
	.text
.Lfunc_end0:
	.size	fft_rtc_back_len100_factors_10_5_2_wgs_250_tpt_10_dim3_sp_ip_CI_sbcc_twdbase8_2step_dirReg, .Lfunc_end0-fft_rtc_back_len100_factors_10_5_2_wgs_250_tpt_10_dim3_sp_ip_CI_sbcc_twdbase8_2step_dirReg
                                        ; -- End function
	.section	.AMDGPU.csdata,"",@progbits
; Kernel info:
; codeLenInByte = 6424
; NumSgprs: 30
; NumVgprs: 61
; ScratchSize: 0
; MemoryBound: 0
; FloatMode: 240
; IeeeMode: 1
; LDSByteSize: 0 bytes/workgroup (compile time only)
; SGPRBlocks: 3
; VGPRBlocks: 15
; NumSGPRsForWavesPerEU: 30
; NumVGPRsForWavesPerEU: 61
; Occupancy: 4
; WaveLimiterHint : 1
; COMPUTE_PGM_RSRC2:SCRATCH_EN: 0
; COMPUTE_PGM_RSRC2:USER_SGPR: 6
; COMPUTE_PGM_RSRC2:TRAP_HANDLER: 0
; COMPUTE_PGM_RSRC2:TGID_X_EN: 1
; COMPUTE_PGM_RSRC2:TGID_Y_EN: 0
; COMPUTE_PGM_RSRC2:TGID_Z_EN: 0
; COMPUTE_PGM_RSRC2:TIDIG_COMP_CNT: 0
	.type	__hip_cuid_ca000359496a11d,@object ; @__hip_cuid_ca000359496a11d
	.section	.bss,"aw",@nobits
	.globl	__hip_cuid_ca000359496a11d
__hip_cuid_ca000359496a11d:
	.byte	0                               ; 0x0
	.size	__hip_cuid_ca000359496a11d, 1

	.ident	"AMD clang version 19.0.0git (https://github.com/RadeonOpenCompute/llvm-project roc-6.4.0 25133 c7fe45cf4b819c5991fe208aaa96edf142730f1d)"
	.section	".note.GNU-stack","",@progbits
	.addrsig
	.addrsig_sym __hip_cuid_ca000359496a11d
	.amdgpu_metadata
---
amdhsa.kernels:
  - .args:
      - .actual_access:  read_only
        .address_space:  global
        .offset:         0
        .size:           8
        .value_kind:     global_buffer
      - .address_space:  global
        .offset:         8
        .size:           8
        .value_kind:     global_buffer
      - .actual_access:  read_only
        .address_space:  global
        .offset:         16
        .size:           8
        .value_kind:     global_buffer
      - .actual_access:  read_only
        .address_space:  global
        .offset:         24
        .size:           8
        .value_kind:     global_buffer
      - .offset:         32
        .size:           8
        .value_kind:     by_value
      - .actual_access:  read_only
        .address_space:  global
        .offset:         40
        .size:           8
        .value_kind:     global_buffer
      - .actual_access:  read_only
        .address_space:  global
        .offset:         48
        .size:           8
        .value_kind:     global_buffer
      - .offset:         56
        .size:           4
        .value_kind:     by_value
      - .actual_access:  read_only
        .address_space:  global
        .offset:         64
        .size:           8
        .value_kind:     global_buffer
      - .actual_access:  read_only
        .address_space:  global
        .offset:         72
        .size:           8
        .value_kind:     global_buffer
      - .address_space:  global
        .offset:         80
        .size:           8
        .value_kind:     global_buffer
    .group_segment_fixed_size: 0
    .kernarg_segment_align: 8
    .kernarg_segment_size: 88
    .language:       OpenCL C
    .language_version:
      - 2
      - 0
    .max_flat_workgroup_size: 250
    .name:           fft_rtc_back_len100_factors_10_5_2_wgs_250_tpt_10_dim3_sp_ip_CI_sbcc_twdbase8_2step_dirReg
    .private_segment_fixed_size: 0
    .sgpr_count:     30
    .sgpr_spill_count: 0
    .symbol:         fft_rtc_back_len100_factors_10_5_2_wgs_250_tpt_10_dim3_sp_ip_CI_sbcc_twdbase8_2step_dirReg.kd
    .uniform_work_group_size: 1
    .uses_dynamic_stack: false
    .vgpr_count:     61
    .vgpr_spill_count: 0
    .wavefront_size: 64
amdhsa.target:   amdgcn-amd-amdhsa--gfx906
amdhsa.version:
  - 1
  - 2
...

	.end_amdgpu_metadata
